;; amdgpu-corpus repo=ROCm/rocFFT kind=compiled arch=gfx950 opt=O3
	.text
	.amdgcn_target "amdgcn-amd-amdhsa--gfx950"
	.amdhsa_code_object_version 6
	.protected	fft_rtc_fwd_len77_factors_7_11_wgs_253_tpt_11_halfLds_dp_ip_CI_unitstride_sbrr_dirReg ; -- Begin function fft_rtc_fwd_len77_factors_7_11_wgs_253_tpt_11_halfLds_dp_ip_CI_unitstride_sbrr_dirReg
	.globl	fft_rtc_fwd_len77_factors_7_11_wgs_253_tpt_11_halfLds_dp_ip_CI_unitstride_sbrr_dirReg
	.p2align	8
	.type	fft_rtc_fwd_len77_factors_7_11_wgs_253_tpt_11_halfLds_dp_ip_CI_unitstride_sbrr_dirReg,@function
fft_rtc_fwd_len77_factors_7_11_wgs_253_tpt_11_halfLds_dp_ip_CI_unitstride_sbrr_dirReg: ; @fft_rtc_fwd_len77_factors_7_11_wgs_253_tpt_11_halfLds_dp_ip_CI_unitstride_sbrr_dirReg
; %bb.0:
	s_load_dwordx2 s[8:9], s[0:1], 0x50
	s_load_dwordx4 s[4:7], s[0:1], 0x0
	s_load_dwordx2 s[10:11], s[0:1], 0x18
	v_mul_u32_u24_e32 v1, 0x1746, v0
	v_lshrrev_b32_e32 v2, 16, v1
	v_mad_u64_u32 v[2:3], s[2:3], s2, 23, v[2:3]
	v_mov_b32_e32 v6, 0
	v_mov_b32_e32 v3, v6
	s_waitcnt lgkmcnt(0)
	v_cmp_lt_u64_e64 s[2:3], s[6:7], 2
	s_and_b64 vcc, exec, s[2:3]
	v_mov_b64_e32 v[4:5], 0
	v_mov_b64_e32 v[10:11], v[2:3]
	s_cbranch_vccnz .LBB0_8
; %bb.1:
	s_load_dwordx2 s[2:3], s[0:1], 0x10
	s_add_u32 s12, s10, 8
	s_addc_u32 s13, s11, 0
	s_mov_b64 s[14:15], 1
	v_mov_b64_e32 v[4:5], 0
	s_waitcnt lgkmcnt(0)
	s_add_u32 s16, s2, 8
	s_addc_u32 s17, s3, 0
	v_mov_b64_e32 v[8:9], v[2:3]
.LBB0_2:                                ; =>This Inner Loop Header: Depth=1
	s_load_dwordx2 s[18:19], s[16:17], 0x0
                                        ; implicit-def: $vgpr10_vgpr11
	s_waitcnt lgkmcnt(0)
	v_or_b32_e32 v7, s19, v9
	v_cmp_ne_u64_e32 vcc, 0, v[6:7]
	s_and_saveexec_b64 s[2:3], vcc
	s_xor_b64 s[20:21], exec, s[2:3]
	s_cbranch_execz .LBB0_4
; %bb.3:                                ;   in Loop: Header=BB0_2 Depth=1
	v_cvt_f32_u32_e32 v1, s18
	v_cvt_f32_u32_e32 v3, s19
	s_sub_u32 s2, 0, s18
	s_subb_u32 s3, 0, s19
	v_fmac_f32_e32 v1, 0x4f800000, v3
	v_rcp_f32_e32 v1, v1
	s_nop 0
	v_mul_f32_e32 v1, 0x5f7ffffc, v1
	v_mul_f32_e32 v3, 0x2f800000, v1
	v_trunc_f32_e32 v3, v3
	v_fmac_f32_e32 v1, 0xcf800000, v3
	v_cvt_u32_f32_e32 v3, v3
	v_cvt_u32_f32_e32 v1, v1
	v_mul_lo_u32 v7, s2, v3
	v_mul_hi_u32 v10, s2, v1
	v_mul_lo_u32 v11, s3, v1
	v_add_u32_e32 v7, v10, v7
	v_mul_lo_u32 v14, s2, v1
	v_add_u32_e32 v7, v7, v11
	v_mul_hi_u32 v10, v1, v14
	v_mul_hi_u32 v13, v1, v7
	v_mul_lo_u32 v12, v1, v7
	v_mov_b32_e32 v11, v6
	v_lshl_add_u64 v[10:11], v[10:11], 0, v[12:13]
	v_mul_hi_u32 v13, v3, v14
	v_mul_lo_u32 v14, v3, v14
	v_add_co_u32_e32 v10, vcc, v10, v14
	v_mul_hi_u32 v12, v3, v7
	s_nop 0
	v_addc_co_u32_e32 v10, vcc, v11, v13, vcc
	v_mov_b32_e32 v11, v6
	s_nop 0
	v_addc_co_u32_e32 v13, vcc, 0, v12, vcc
	v_mul_lo_u32 v12, v3, v7
	v_lshl_add_u64 v[10:11], v[10:11], 0, v[12:13]
	v_add_co_u32_e32 v1, vcc, v1, v10
	v_mul_hi_u32 v10, s2, v1
	s_nop 0
	v_addc_co_u32_e32 v3, vcc, v3, v11, vcc
	v_mul_lo_u32 v7, s2, v3
	v_add_u32_e32 v7, v10, v7
	v_mul_lo_u32 v10, s3, v1
	v_add_u32_e32 v7, v7, v10
	v_mul_lo_u32 v12, s2, v1
	v_mul_hi_u32 v15, v3, v12
	v_mul_lo_u32 v16, v3, v12
	v_mul_hi_u32 v11, v1, v7
	;; [unrolled: 2-line block ×3, first 2 shown]
	v_mov_b32_e32 v13, v6
	v_lshl_add_u64 v[10:11], v[12:13], 0, v[10:11]
	v_add_co_u32_e32 v10, vcc, v10, v16
	v_mul_hi_u32 v14, v3, v7
	s_nop 0
	v_addc_co_u32_e32 v10, vcc, v11, v15, vcc
	v_mul_lo_u32 v12, v3, v7
	s_nop 0
	v_addc_co_u32_e32 v13, vcc, 0, v14, vcc
	v_mov_b32_e32 v11, v6
	v_lshl_add_u64 v[10:11], v[10:11], 0, v[12:13]
	v_add_co_u32_e32 v1, vcc, v1, v10
	v_mul_hi_u32 v12, v8, v1
	s_nop 0
	v_addc_co_u32_e32 v3, vcc, v3, v11, vcc
	v_mad_u64_u32 v[10:11], s[2:3], v8, v3, 0
	v_mov_b32_e32 v13, v6
	v_lshl_add_u64 v[10:11], v[12:13], 0, v[10:11]
	v_mad_u64_u32 v[14:15], s[2:3], v9, v1, 0
	v_add_co_u32_e32 v1, vcc, v10, v14
	v_mad_u64_u32 v[12:13], s[2:3], v9, v3, 0
	s_nop 0
	v_addc_co_u32_e32 v10, vcc, v11, v15, vcc
	v_mov_b32_e32 v11, v6
	s_nop 0
	v_addc_co_u32_e32 v13, vcc, 0, v13, vcc
	v_lshl_add_u64 v[10:11], v[10:11], 0, v[12:13]
	v_mul_lo_u32 v1, s19, v10
	v_mul_lo_u32 v3, s18, v11
	v_mad_u64_u32 v[12:13], s[2:3], s18, v10, 0
	v_add3_u32 v1, v13, v3, v1
	v_sub_u32_e32 v3, v9, v1
	v_mov_b32_e32 v7, s19
	v_sub_co_u32_e32 v16, vcc, v8, v12
	v_lshl_add_u64 v[14:15], v[10:11], 0, 1
	s_nop 0
	v_subb_co_u32_e64 v3, s[2:3], v3, v7, vcc
	v_subrev_co_u32_e64 v7, s[2:3], s18, v16
	v_subb_co_u32_e32 v1, vcc, v9, v1, vcc
	s_nop 0
	v_subbrev_co_u32_e64 v3, s[2:3], 0, v3, s[2:3]
	v_cmp_le_u32_e64 s[2:3], s19, v3
	v_cmp_le_u32_e32 vcc, s19, v1
	s_nop 0
	v_cndmask_b32_e64 v12, 0, -1, s[2:3]
	v_cmp_le_u32_e64 s[2:3], s18, v7
	s_nop 1
	v_cndmask_b32_e64 v7, 0, -1, s[2:3]
	v_cmp_eq_u32_e64 s[2:3], s19, v3
	s_nop 1
	v_cndmask_b32_e64 v3, v12, v7, s[2:3]
	v_lshl_add_u64 v[12:13], v[10:11], 0, 2
	v_cmp_ne_u32_e64 s[2:3], 0, v3
	v_cndmask_b32_e64 v7, 0, -1, vcc
	v_cmp_le_u32_e32 vcc, s18, v16
	v_cndmask_b32_e64 v3, v15, v13, s[2:3]
	s_nop 0
	v_cndmask_b32_e64 v13, 0, -1, vcc
	v_cmp_eq_u32_e32 vcc, s19, v1
	s_nop 1
	v_cndmask_b32_e32 v1, v7, v13, vcc
	v_cmp_ne_u32_e32 vcc, 0, v1
	v_cndmask_b32_e64 v1, v14, v12, s[2:3]
	s_nop 0
	v_cndmask_b32_e32 v11, v11, v3, vcc
	v_cndmask_b32_e32 v10, v10, v1, vcc
.LBB0_4:                                ;   in Loop: Header=BB0_2 Depth=1
	s_andn2_saveexec_b64 s[2:3], s[20:21]
	s_cbranch_execz .LBB0_6
; %bb.5:                                ;   in Loop: Header=BB0_2 Depth=1
	v_cvt_f32_u32_e32 v1, s18
	s_sub_i32 s20, 0, s18
	v_mov_b32_e32 v11, v6
	v_rcp_iflag_f32_e32 v1, v1
	s_nop 0
	v_mul_f32_e32 v1, 0x4f7ffffe, v1
	v_cvt_u32_f32_e32 v1, v1
	v_mul_lo_u32 v3, s20, v1
	v_mul_hi_u32 v3, v1, v3
	v_add_u32_e32 v1, v1, v3
	v_mul_hi_u32 v1, v8, v1
	v_mul_lo_u32 v3, v1, s18
	v_sub_u32_e32 v3, v8, v3
	v_add_u32_e32 v7, 1, v1
	v_subrev_u32_e32 v10, s18, v3
	v_cmp_le_u32_e32 vcc, s18, v3
	s_nop 1
	v_cndmask_b32_e32 v3, v3, v10, vcc
	v_cndmask_b32_e32 v1, v1, v7, vcc
	v_add_u32_e32 v7, 1, v1
	v_cmp_le_u32_e32 vcc, s18, v3
	s_nop 1
	v_cndmask_b32_e32 v10, v1, v7, vcc
.LBB0_6:                                ;   in Loop: Header=BB0_2 Depth=1
	s_or_b64 exec, exec, s[2:3]
	v_mad_u64_u32 v[12:13], s[2:3], v10, s18, 0
	s_load_dwordx2 s[2:3], s[12:13], 0x0
	s_add_u32 s14, s14, 1
	v_mul_lo_u32 v1, v11, s18
	v_mul_lo_u32 v3, v10, s19
	s_addc_u32 s15, s15, 0
	v_add3_u32 v1, v13, v3, v1
	v_sub_co_u32_e32 v3, vcc, v8, v12
	s_add_u32 s12, s12, 8
	s_nop 0
	v_subb_co_u32_e32 v1, vcc, v9, v1, vcc
	s_addc_u32 s13, s13, 0
	v_mov_b64_e32 v[8:9], s[6:7]
	s_waitcnt lgkmcnt(0)
	v_mul_lo_u32 v1, s2, v1
	v_mul_lo_u32 v7, s3, v3
	v_mad_u64_u32 v[4:5], s[2:3], s2, v3, v[4:5]
	s_add_u32 s16, s16, 8
	v_cmp_ge_u64_e32 vcc, s[14:15], v[8:9]
	v_add3_u32 v5, v7, v5, v1
	s_addc_u32 s17, s17, 0
	s_cbranch_vccnz .LBB0_8
; %bb.7:                                ;   in Loop: Header=BB0_2 Depth=1
	v_mov_b64_e32 v[8:9], v[10:11]
	s_branch .LBB0_2
.LBB0_8:
	s_lshl_b64 s[2:3], s[6:7], 3
	s_add_u32 s2, s10, s2
	s_addc_u32 s3, s11, s3
	s_load_dwordx2 s[6:7], s[2:3], 0x0
	s_load_dwordx2 s[10:11], s[0:1], 0x20
                                        ; implicit-def: $vgpr36_vgpr37
                                        ; implicit-def: $vgpr32_vgpr33
                                        ; implicit-def: $vgpr28_vgpr29
                                        ; implicit-def: $vgpr24_vgpr25
                                        ; implicit-def: $vgpr20_vgpr21
                                        ; implicit-def: $vgpr16_vgpr17
                                        ; implicit-def: $vgpr12_vgpr13
	s_waitcnt lgkmcnt(0)
	v_mad_u64_u32 v[4:5], s[0:1], s6, v10, v[4:5]
	v_mul_lo_u32 v1, s6, v11
	v_mul_lo_u32 v3, s7, v10
	s_mov_b32 s0, 0x1745d175
	v_add3_u32 v5, v3, v5, v1
	v_mul_hi_u32 v1, v0, s0
	v_mul_u32_u24_e32 v1, 11, v1
	v_cmp_gt_u64_e32 vcc, s[10:11], v[10:11]
	v_sub_u32_e32 v38, v0, v1
	v_lshl_add_u64 v[40:41], v[4:5], 4, s[8:9]
	s_and_saveexec_b64 s[0:1], vcc
	s_cbranch_execz .LBB0_10
; %bb.9:
	v_mov_b32_e32 v39, 0
	v_lshl_add_u64 v[0:1], v[38:39], 4, v[40:41]
	global_load_dwordx4 v[10:13], v[0:1], off
	global_load_dwordx4 v[14:17], v[0:1], off offset:176
	global_load_dwordx4 v[18:21], v[0:1], off offset:352
	;; [unrolled: 1-line block ×6, first 2 shown]
.LBB0_10:
	s_or_b64 exec, exec, s[0:1]
	s_mov_b32 s0, 0xb21642c9
	v_mul_hi_u32 v0, v2, s0
	v_lshrrev_b32_e32 v0, 4, v0
	v_mul_lo_u32 v0, v0, 23
	v_sub_u32_e32 v0, v2, v0
	v_mul_u32_u24_e32 v39, 0x4d, v0
	s_waitcnt vmcnt(0)
	v_add_f64 v[0:1], v[34:35], v[14:15]
	v_add_f64 v[4:5], v[30:31], v[18:19]
	v_add_f64 v[6:7], v[20:21], -v[32:33]
	v_add_f64 v[8:9], v[26:27], v[22:23]
	v_add_f64 v[42:43], v[28:29], -v[24:25]
	v_add_f64 v[44:45], v[4:5], v[0:1]
	s_mov_b32 s2, 0x37e14327
	s_mov_b32 s6, 0x36b3c0b5
	;; [unrolled: 1-line block ×3, first 2 shown]
	v_add_f64 v[2:3], v[16:17], -v[36:37]
	v_add_f64 v[46:47], v[4:5], -v[0:1]
	;; [unrolled: 1-line block ×5, first 2 shown]
	v_add_f64 v[8:9], v[8:9], v[44:45]
	s_mov_b32 s3, 0x3fe948f6
	s_mov_b32 s7, 0x3fac98ee
	;; [unrolled: 1-line block ×6, first 2 shown]
	v_add_f64 v[48:49], v[42:43], v[6:7]
	v_add_f64 v[52:53], v[2:3], -v[42:43]
	v_add_f64 v[6:7], v[6:7], -v[2:3]
	v_add_f64 v[42:43], v[10:11], v[8:9]
	v_mul_f64 v[0:1], v[0:1], s[2:3]
	v_mul_f64 v[10:11], v[4:5], s[6:7]
	;; [unrolled: 1-line block ×3, first 2 shown]
	s_mov_b32 s9, 0x3febfeb5
	s_mov_b32 s13, 0xbff2aaaa
	;; [unrolled: 1-line block ×7, first 2 shown]
	v_add_f64 v[2:3], v[48:49], v[2:3]
	v_mul_f64 v[44:45], v[6:7], s[8:9]
	v_fma_f64 v[8:9], s[12:13], v[8:9], v[42:43]
	v_fma_f64 v[10:11], v[46:47], s[14:15], -v[10:11]
	v_fma_f64 v[46:47], v[46:47], s[16:17], -v[0:1]
	v_fmac_f64_e32 v[0:1], s[6:7], v[4:5]
	s_mov_b32 s19, 0x3fd5d0dc
	v_fma_f64 v[4:5], v[6:7], s[8:9], -v[54:55]
	s_mov_b32 s23, 0xbfd5d0dc
	s_mov_b32 s22, s18
	;; [unrolled: 1-line block ×3, first 2 shown]
	v_fmac_f64_e32 v[54:55], s[18:19], v[52:53]
	v_fma_f64 v[6:7], v[52:53], s[22:23], -v[44:45]
	v_add_f64 v[10:11], v[10:11], v[8:9]
	v_fmac_f64_e32 v[4:5], s[20:21], v[2:3]
	v_add_f64 v[52:53], v[0:1], v[8:9]
	v_add_f64 v[8:9], v[46:47], v[8:9]
	v_fmac_f64_e32 v[54:55], s[20:21], v[2:3]
	v_fmac_f64_e32 v[6:7], s[20:21], v[2:3]
	v_add_f64 v[46:47], v[10:11], -v[4:5]
	v_add_f64 v[48:49], v[4:5], v[10:11]
	v_mad_u32_u24 v4, v38, 56, 0
	v_add_f64 v[0:1], v[54:55], v[52:53]
	v_add_f64 v[44:45], v[6:7], v[8:9]
	v_add_f64 v[50:51], v[8:9], -v[6:7]
	v_add_f64 v[2:3], v[52:53], -v[54:55]
	v_lshl_add_u32 v53, v39, 3, v4
	v_cmp_gt_u32_e64 s[0:1], 7, v38
	v_lshlrev_b32_e32 v39, 3, v39
	v_lshlrev_b32_e32 v52, 3, v38
	ds_write2_b64 v53, v[42:43], v[0:1] offset1:1
	ds_write2_b64 v53, v[44:45], v[46:47] offset0:2 offset1:3
	ds_write2_b64 v53, v[48:49], v[50:51] offset0:4 offset1:5
	ds_write_b64 v53, v[2:3] offset:48
	s_waitcnt lgkmcnt(0)
	s_barrier
	s_waitcnt lgkmcnt(0)
                                        ; implicit-def: $vgpr6_vgpr7
                                        ; implicit-def: $vgpr10_vgpr11
	s_and_saveexec_b64 s[24:25], s[0:1]
	s_cbranch_execz .LBB0_12
; %bb.11:
	v_add3_u32 v0, 0, v39, v52
	ds_read_b64 v[42:43], v0
	v_mul_i32_i24_e32 v0, 0xffffffd0, v38
	v_add3_u32 v4, v4, v0, v39
	ds_read2_b64 v[0:3], v4 offset0:35 offset1:42
	ds_read2_b64 v[44:47], v4 offset0:21 offset1:28
	;; [unrolled: 1-line block ×5, first 2 shown]
	s_waitcnt lgkmcnt(4)
	v_mov_b64_e32 v[50:51], v[0:1]
	s_waitcnt lgkmcnt(3)
	v_mov_b64_e32 v[48:49], v[46:47]
	v_mov_b64_e32 v[46:47], v[44:45]
	s_waitcnt lgkmcnt(2)
	v_mov_b64_e32 v[44:45], v[56:57]
	v_mov_b64_e32 v[0:1], v[54:55]
.LBB0_12:
	s_or_b64 exec, exec, s[24:25]
	v_add_f64 v[16:17], v[36:37], v[16:17]
	v_add_f64 v[20:21], v[32:33], v[20:21]
	v_add_f64 v[14:15], v[14:15], -v[34:35]
	v_add_f64 v[18:19], v[18:19], -v[30:31]
	v_add_f64 v[24:25], v[28:29], v[24:25]
	v_add_f64 v[22:23], v[26:27], -v[22:23]
	v_add_f64 v[26:27], v[20:21], v[16:17]
	v_add_f64 v[28:29], v[20:21], -v[16:17]
	v_add_f64 v[16:17], v[16:17], -v[24:25]
	v_add_f64 v[20:21], v[24:25], -v[20:21]
	v_add_f64 v[30:31], v[22:23], v[18:19]
	v_add_f64 v[34:35], v[22:23], -v[18:19]
	v_add_f64 v[18:19], v[18:19], -v[14:15]
	v_add_f64 v[24:25], v[24:25], v[26:27]
	v_add_f64 v[22:23], v[14:15], -v[22:23]
	v_add_f64 v[14:15], v[30:31], v[14:15]
	v_add_f64 v[32:33], v[12:13], v[24:25]
	v_mul_f64 v[12:13], v[16:17], s[2:3]
	v_mul_f64 v[16:17], v[20:21], s[6:7]
	v_mul_f64 v[26:27], v[34:35], s[10:11]
	v_mul_f64 v[30:31], v[18:19], s[8:9]
	v_fma_f64 v[24:25], s[12:13], v[24:25], v[32:33]
	v_fma_f64 v[16:17], v[28:29], s[14:15], -v[16:17]
	v_fma_f64 v[28:29], v[28:29], s[16:17], -v[12:13]
	v_fmac_f64_e32 v[12:13], s[6:7], v[20:21]
	v_fma_f64 v[18:19], v[18:19], s[8:9], -v[26:27]
	v_fmac_f64_e32 v[26:27], s[18:19], v[22:23]
	v_fma_f64 v[20:21], v[22:23], s[22:23], -v[30:31]
	v_add_f64 v[22:23], v[12:13], v[24:25]
	v_add_f64 v[16:17], v[16:17], v[24:25]
	;; [unrolled: 1-line block ×3, first 2 shown]
	v_fmac_f64_e32 v[26:27], s[20:21], v[14:15]
	v_fmac_f64_e32 v[18:19], s[20:21], v[14:15]
	;; [unrolled: 1-line block ×3, first 2 shown]
	v_add_f64 v[12:13], v[22:23], -v[26:27]
	v_add_f64 v[58:59], v[24:25], -v[20:21]
	v_add_f64 v[60:61], v[18:19], v[16:17]
	v_add_f64 v[56:57], v[16:17], -v[18:19]
	v_add_f64 v[54:55], v[20:21], v[24:25]
	v_add_f64 v[14:15], v[26:27], v[22:23]
	s_waitcnt lgkmcnt(0)
	s_barrier
	ds_write2_b64 v53, v[32:33], v[12:13] offset1:1
	ds_write2_b64 v53, v[58:59], v[60:61] offset0:2 offset1:3
	ds_write2_b64 v53, v[56:57], v[54:55] offset0:4 offset1:5
	ds_write_b64 v53, v[14:15] offset:48
	s_waitcnt lgkmcnt(0)
	s_barrier
	s_waitcnt lgkmcnt(0)
                                        ; implicit-def: $vgpr18_vgpr19
                                        ; implicit-def: $vgpr22_vgpr23
	s_and_saveexec_b64 s[2:3], s[0:1]
	s_cbranch_execnz .LBB0_15
; %bb.13:
	s_or_b64 exec, exec, s[2:3]
	s_and_b64 s[0:1], vcc, s[0:1]
	s_and_saveexec_b64 s[2:3], s[0:1]
	s_cbranch_execnz .LBB0_16
.LBB0_14:
	s_endpgm
.LBB0_15:
	v_add3_u32 v12, 0, v39, v52
	ds_read_b64 v[32:33], v12
	v_add3_u32 v16, 0, v52, v39
	ds_read2_b64 v[12:15], v16 offset0:35 offset1:42
	ds_read2_b64 v[24:27], v16 offset0:21 offset1:28
	;; [unrolled: 1-line block ×5, first 2 shown]
	s_waitcnt lgkmcnt(4)
	v_mov_b64_e32 v[54:55], v[12:13]
	s_waitcnt lgkmcnt(3)
	v_mov_b64_e32 v[56:57], v[26:27]
	v_mov_b64_e32 v[60:61], v[24:25]
	s_waitcnt lgkmcnt(2)
	v_mov_b64_e32 v[58:59], v[30:31]
	v_mov_b64_e32 v[12:13], v[28:29]
	s_or_b64 exec, exec, s[2:3]
	s_and_b64 s[0:1], vcc, s[0:1]
	s_and_saveexec_b64 s[2:3], s[0:1]
	s_cbranch_execz .LBB0_14
.LBB0_16:
	v_mul_u32_u24_e32 v24, 10, v38
	v_lshlrev_b32_e32 v34, 4, v24
	global_load_dwordx4 v[24:27], v34, s[4:5] offset:80
	global_load_dwordx4 v[28:31], v34, s[4:5] offset:96
	;; [unrolled: 1-line block ×7, first 2 shown]
	global_load_dwordx4 v[84:87], v34, s[4:5]
	global_load_dwordx4 v[88:91], v34, s[4:5] offset:128
	global_load_dwordx4 v[92:95], v34, s[4:5] offset:144
	s_mov_b32 s2, 0x9bcd5057
	s_mov_b32 s0, 0x8764f0ba
	;; [unrolled: 1-line block ×30, first 2 shown]
	v_mov_b32_e32 v39, 0
	s_waitcnt vmcnt(9)
	v_mul_f64 v[34:35], v[14:15], v[24:25]
	s_waitcnt vmcnt(8) lgkmcnt(1)
	v_mul_f64 v[36:37], v[20:21], v[28:29]
	v_mul_f64 v[96:97], v[20:21], v[30:31]
	s_waitcnt vmcnt(7)
	v_mul_f64 v[20:21], v[22:23], v[64:65]
	v_mul_f64 v[98:99], v[22:23], v[66:67]
	s_waitcnt vmcnt(6)
	;; [unrolled: 3-line block ×3, first 2 shown]
	v_mul_f64 v[62:63], v[12:13], v[84:85]
	v_mul_f64 v[54:55], v[56:57], v[72:73]
	s_waitcnt vmcnt(0) lgkmcnt(0)
	v_mul_f64 v[22:23], v[18:19], v[92:93]
	v_mul_f64 v[102:103], v[56:57], v[74:75]
	;; [unrolled: 1-line block ×9, first 2 shown]
	v_fmac_f64_e32 v[62:63], v[0:1], v[86:87]
	v_fmac_f64_e32 v[22:23], v[6:7], v[94:95]
	v_mul_f64 v[16:17], v[16:17], v[90:91]
	v_fmac_f64_e32 v[36:37], v[8:9], v[30:31]
	v_fmac_f64_e32 v[20:21], v[10:11], v[66:67]
	;; [unrolled: 1-line block ×3, first 2 shown]
	v_fma_f64 v[30:31], v[50:51], v[68:69], -v[100:101]
	v_fmac_f64_e32 v[60:61], v[44:45], v[82:83]
	v_fma_f64 v[66:67], v[0:1], v[84:85], -v[12:13]
	v_fmac_f64_e32 v[58:59], v[4:5], v[90:91]
	v_fma_f64 v[50:51], v[6:7], v[92:93], -v[18:19]
	v_add_f64 v[94:95], v[62:63], v[22:23]
	v_mul_f64 v[14:15], v[14:15], v[26:27]
	v_fmac_f64_e32 v[34:35], v[2:3], v[26:27]
	v_fma_f64 v[26:27], v[8:9], v[28:29], -v[96:97]
	v_fma_f64 v[28:29], v[10:11], v[64:65], -v[98:99]
	v_fmac_f64_e32 v[56:57], v[46:47], v[78:79]
	v_fma_f64 v[64:65], v[44:45], v[80:81], -v[106:107]
	v_fma_f64 v[44:45], v[4:5], v[88:89], -v[16:17]
	v_add_f64 v[92:93], v[60:61], v[58:59]
	v_add_f64 v[70:71], v[66:67], -v[50:51]
	v_mul_f64 v[4:5], v[94:95], s[2:3]
	v_fmac_f64_e32 v[54:55], v[48:49], v[74:75]
	v_fma_f64 v[46:47], v[46:47], v[76:77], -v[104:105]
	v_add_f64 v[68:69], v[64:65], -v[44:45]
	v_add_f64 v[88:89], v[56:57], v[20:21]
	v_mul_f64 v[6:7], v[92:93], s[0:1]
	v_fma_f64 v[0:1], s[10:11], v[70:71], v[4:5]
	v_fma_f64 v[24:25], v[2:3], v[24:25], -v[14:15]
	v_fma_f64 v[48:49], v[48:49], v[72:73], -v[102:103]
	v_add_f64 v[72:73], v[46:47], -v[28:29]
	v_add_f64 v[86:87], v[54:55], v[36:37]
	v_mul_f64 v[8:9], v[88:89], s[6:7]
	v_fma_f64 v[2:3], s[4:5], v[68:69], v[6:7]
	v_add_f64 v[0:1], v[32:33], v[0:1]
	v_add_f64 v[76:77], v[48:49], -v[26:27]
	v_mul_f64 v[10:11], v[86:87], s[8:9]
	v_fma_f64 v[12:13], s[14:15], v[72:73], v[8:9]
	v_add_f64 v[0:1], v[2:3], v[0:1]
	v_add_f64 v[90:91], v[62:63], -v[22:23]
	v_fma_f64 v[14:15], s[12:13], v[76:77], v[10:11]
	v_add_f64 v[0:1], v[12:13], v[0:1]
	v_add_f64 v[74:75], v[66:67], v[50:51]
	v_mul_f64 v[12:13], v[90:91], s[16:17]
	v_add_f64 v[100:101], v[60:61], -v[58:59]
	v_add_f64 v[0:1], v[14:15], v[0:1]
	v_fma_f64 v[2:3], s[2:3], v[74:75], v[12:13]
	v_add_f64 v[78:79], v[64:65], v[44:45]
	v_mul_f64 v[14:15], v[100:101], s[18:19]
	v_fmac_f64_e32 v[4:5], s[16:17], v[70:71]
	v_add_f64 v[2:3], v[42:43], v[2:3]
	v_fma_f64 v[16:17], s[0:1], v[78:79], v[14:15]
	v_add_f64 v[98:99], v[56:57], -v[20:21]
	v_fmac_f64_e32 v[6:7], s[18:19], v[68:69]
	v_add_f64 v[4:5], v[32:33], v[4:5]
	v_add_f64 v[2:3], v[16:17], v[2:3]
	;; [unrolled: 1-line block ×3, first 2 shown]
	v_mul_f64 v[16:17], v[98:99], s[22:23]
	v_add_f64 v[4:5], v[6:7], v[4:5]
	v_fmac_f64_e32 v[8:9], s[22:23], v[72:73]
	v_fma_f64 v[18:19], s[6:7], v[80:81], v[16:17]
	v_add_f64 v[102:103], v[54:55], -v[36:37]
	v_add_f64 v[4:5], v[8:9], v[4:5]
	v_fma_f64 v[8:9], v[74:75], s[2:3], -v[12:13]
	v_add_f64 v[2:3], v[18:19], v[2:3]
	v_add_f64 v[82:83], v[48:49], v[26:27]
	v_mul_f64 v[18:19], v[102:103], s[26:27]
	v_add_f64 v[104:105], v[52:53], v[34:35]
	v_fma_f64 v[6:7], v[78:79], s[0:1], -v[14:15]
	v_add_f64 v[8:9], v[42:43], v[8:9]
	v_fma_f64 v[84:85], s[8:9], v[82:83], v[18:19]
	v_mul_f64 v[110:111], v[104:105], s[20:21]
	v_add_f64 v[96:97], v[30:31], -v[24:25]
	v_add_f64 v[106:107], v[52:53], -v[34:35]
	v_fmac_f64_e32 v[10:11], s[26:27], v[76:77]
	v_add_f64 v[6:7], v[6:7], v[8:9]
	v_fma_f64 v[8:9], v[80:81], s[6:7], -v[16:17]
	v_add_f64 v[108:109], v[84:85], v[2:3]
	v_fma_f64 v[2:3], s[28:29], v[96:97], v[110:111]
	v_add_f64 v[84:85], v[30:31], v[24:25]
	v_mul_f64 v[112:113], v[106:107], s[24:25]
	v_add_f64 v[4:5], v[10:11], v[4:5]
	v_add_f64 v[6:7], v[8:9], v[6:7]
	v_fma_f64 v[8:9], v[82:83], s[8:9], -v[18:19]
	v_fmac_f64_e32 v[110:111], s[24:25], v[96:97]
	v_add_f64 v[8:9], v[8:9], v[6:7]
	v_add_f64 v[6:7], v[110:111], v[4:5]
	v_fma_f64 v[4:5], v[84:85], s[20:21], -v[112:113]
	v_mul_f64 v[12:13], v[94:95], s[6:7]
	v_add_f64 v[4:5], v[4:5], v[8:9]
	v_fma_f64 v[8:9], s[14:15], v[70:71], v[12:13]
	v_mul_f64 v[14:15], v[92:93], s[20:21]
	v_add_f64 v[8:9], v[32:33], v[8:9]
	v_fma_f64 v[10:11], s[24:25], v[68:69], v[14:15]
	v_mul_f64 v[16:17], v[88:89], s[0:1]
	v_add_f64 v[2:3], v[2:3], v[0:1]
	v_fma_f64 v[0:1], s[20:21], v[84:85], v[112:113]
	v_add_f64 v[8:9], v[10:11], v[8:9]
	v_fma_f64 v[10:11], s[18:19], v[72:73], v[16:17]
	v_mul_f64 v[18:19], v[86:87], s[2:3]
	v_add_f64 v[0:1], v[0:1], v[108:109]
	v_add_f64 v[8:9], v[10:11], v[8:9]
	v_fma_f64 v[10:11], s[10:11], v[76:77], v[18:19]
	v_mul_f64 v[108:109], v[90:91], s[22:23]
	v_add_f64 v[8:9], v[10:11], v[8:9]
	v_fma_f64 v[10:11], s[6:7], v[74:75], v[108:109]
	v_mul_f64 v[110:111], v[100:101], s[28:29]
	v_fmac_f64_e32 v[12:13], s[22:23], v[70:71]
	v_add_f64 v[10:11], v[42:43], v[10:11]
	v_fma_f64 v[112:113], s[20:21], v[78:79], v[110:111]
	v_fmac_f64_e32 v[14:15], s[28:29], v[68:69]
	v_add_f64 v[12:13], v[32:33], v[12:13]
	v_add_f64 v[10:11], v[112:113], v[10:11]
	v_mul_f64 v[112:113], v[98:99], s[4:5]
	v_add_f64 v[12:13], v[14:15], v[12:13]
	v_fmac_f64_e32 v[16:17], s[4:5], v[72:73]
	v_fma_f64 v[114:115], s[0:1], v[80:81], v[112:113]
	v_add_f64 v[12:13], v[16:17], v[12:13]
	v_fma_f64 v[16:17], v[74:75], s[6:7], -v[108:109]
	v_add_f64 v[10:11], v[114:115], v[10:11]
	v_mul_f64 v[114:115], v[102:103], s[16:17]
	v_fma_f64 v[14:15], v[78:79], s[20:21], -v[110:111]
	v_add_f64 v[16:17], v[42:43], v[16:17]
	v_fma_f64 v[116:117], s[2:3], v[82:83], v[114:115]
	v_mul_f64 v[118:119], v[104:105], s[8:9]
	v_fmac_f64_e32 v[18:19], s[16:17], v[76:77]
	v_add_f64 v[14:15], v[14:15], v[16:17]
	v_fma_f64 v[16:17], v[80:81], s[0:1], -v[112:113]
	v_add_f64 v[116:117], v[116:117], v[10:11]
	v_fma_f64 v[10:11], s[12:13], v[96:97], v[118:119]
	v_mul_f64 v[120:121], v[106:107], s[26:27]
	v_add_f64 v[12:13], v[18:19], v[12:13]
	v_add_f64 v[14:15], v[16:17], v[14:15]
	v_fma_f64 v[16:17], v[82:83], s[2:3], -v[114:115]
	v_fmac_f64_e32 v[118:119], s[26:27], v[96:97]
	v_add_f64 v[16:17], v[16:17], v[14:15]
	v_add_f64 v[14:15], v[118:119], v[12:13]
	v_fma_f64 v[12:13], v[84:85], s[8:9], -v[120:121]
	v_mul_f64 v[108:109], v[94:95], s[20:21]
	v_add_f64 v[12:13], v[12:13], v[16:17]
	v_fma_f64 v[16:17], s[28:29], v[70:71], v[108:109]
	v_mul_f64 v[110:111], v[92:93], s[2:3]
	v_add_f64 v[16:17], v[32:33], v[16:17]
	v_fma_f64 v[18:19], s[16:17], v[68:69], v[110:111]
	v_mul_f64 v[112:113], v[88:89], s[8:9]
	v_add_f64 v[10:11], v[10:11], v[8:9]
	v_fma_f64 v[8:9], s[8:9], v[84:85], v[120:121]
	v_add_f64 v[16:17], v[18:19], v[16:17]
	v_fma_f64 v[18:19], s[12:13], v[72:73], v[112:113]
	v_mul_f64 v[114:115], v[86:87], s[0:1]
	v_add_f64 v[8:9], v[8:9], v[116:117]
	v_add_f64 v[16:17], v[18:19], v[16:17]
	v_fma_f64 v[18:19], s[18:19], v[76:77], v[114:115]
	v_mul_f64 v[116:117], v[90:91], s[24:25]
	v_add_f64 v[16:17], v[18:19], v[16:17]
	v_fma_f64 v[18:19], s[20:21], v[74:75], v[116:117]
	v_mul_f64 v[118:119], v[100:101], s[10:11]
	v_fmac_f64_e32 v[108:109], s[24:25], v[70:71]
	v_add_f64 v[18:19], v[42:43], v[18:19]
	v_fma_f64 v[120:121], s[2:3], v[78:79], v[118:119]
	v_fmac_f64_e32 v[110:111], s[10:11], v[68:69]
	v_add_f64 v[108:109], v[32:33], v[108:109]
	v_add_f64 v[18:19], v[120:121], v[18:19]
	v_mul_f64 v[120:121], v[98:99], s[26:27]
	v_add_f64 v[108:109], v[110:111], v[108:109]
	v_fmac_f64_e32 v[112:113], s[26:27], v[72:73]
	v_fma_f64 v[122:123], s[8:9], v[80:81], v[120:121]
	v_add_f64 v[108:109], v[112:113], v[108:109]
	v_fma_f64 v[112:113], v[74:75], s[20:21], -v[116:117]
	v_add_f64 v[18:19], v[122:123], v[18:19]
	v_mul_f64 v[122:123], v[102:103], s[4:5]
	v_fma_f64 v[110:111], v[78:79], s[2:3], -v[118:119]
	v_add_f64 v[112:113], v[42:43], v[112:113]
	v_fma_f64 v[124:125], s[0:1], v[82:83], v[122:123]
	v_mul_f64 v[126:127], v[104:105], s[6:7]
	v_fmac_f64_e32 v[114:115], s[4:5], v[76:77]
	v_add_f64 v[110:111], v[110:111], v[112:113]
	v_fma_f64 v[112:113], v[80:81], s[8:9], -v[120:121]
	v_add_f64 v[124:125], v[124:125], v[18:19]
	v_fma_f64 v[18:19], s[14:15], v[96:97], v[126:127]
	;; [unrolled: 50-line block ×3, first 2 shown]
	v_mul_f64 v[136:137], v[106:107], s[18:19]
	v_add_f64 v[116:117], v[122:123], v[116:117]
	v_add_f64 v[118:119], v[120:121], v[118:119]
	v_fma_f64 v[120:121], v[82:83], s[20:21], -v[130:131]
	v_fmac_f64_e32 v[134:135], s[18:19], v[96:97]
	v_add_f64 v[120:121], v[120:121], v[118:119]
	v_add_f64 v[118:119], v[134:135], v[116:117]
	v_fma_f64 v[116:117], v[84:85], s[0:1], -v[136:137]
	v_mul_f64 v[94:95], v[94:95], s[0:1]
	v_add_f64 v[116:117], v[116:117], v[120:121]
	v_mul_f64 v[92:93], v[92:93], s[8:9]
	v_fma_f64 v[120:121], s[18:19], v[70:71], v[94:95]
	v_fmac_f64_e32 v[94:95], s[4:5], v[70:71]
	v_add_f64 v[120:121], v[32:33], v[120:121]
	v_fma_f64 v[122:123], s[26:27], v[68:69], v[92:93]
	v_fmac_f64_e32 v[92:93], s[12:13], v[68:69]
	v_add_f64 v[68:69], v[32:33], v[94:95]
	v_add_f64 v[32:33], v[32:33], v[62:63]
	;; [unrolled: 1-line block ×9, first 2 shown]
	v_mul_f64 v[122:123], v[88:89], s[20:21]
	v_add_f64 v[20:21], v[20:21], v[32:33]
	v_add_f64 v[32:33], v[42:43], v[66:67]
	v_fma_f64 v[88:89], s[28:29], v[72:73], v[122:123]
	v_add_f64 v[32:33], v[64:65], v[32:33]
	v_add_f64 v[88:89], v[88:89], v[120:121]
	v_mul_f64 v[120:121], v[86:87], s[6:7]
	v_add_f64 v[32:33], v[46:47], v[32:33]
	v_fma_f64 v[86:87], s[14:15], v[76:77], v[120:121]
	v_mul_f64 v[90:91], v[90:91], s[4:5]
	v_add_f64 v[32:33], v[48:49], v[32:33]
	v_add_f64 v[86:87], v[86:87], v[88:89]
	v_mul_f64 v[100:101], v[100:101], s[12:13]
	v_fma_f64 v[88:89], s[0:1], v[74:75], v[90:91]
	v_add_f64 v[20:21], v[58:59], v[20:21]
	v_add_f64 v[30:31], v[30:31], v[32:33]
	;; [unrolled: 1-line block ×3, first 2 shown]
	v_fma_f64 v[124:125], s[8:9], v[78:79], v[100:101]
	v_mul_f64 v[98:99], v[98:99], s[24:25]
	v_fma_f64 v[74:75], v[74:75], s[0:1], -v[90:91]
	v_add_f64 v[22:23], v[22:23], v[20:21]
	v_add_f64 v[20:21], v[24:25], v[30:31]
	;; [unrolled: 1-line block ×3, first 2 shown]
	v_fma_f64 v[124:125], s[20:21], v[80:81], v[98:99]
	v_mul_f64 v[102:103], v[102:103], s[22:23]
	v_fma_f64 v[78:79], v[78:79], s[8:9], -v[100:101]
	v_add_f64 v[74:75], v[42:43], v[74:75]
	v_add_f64 v[20:21], v[26:27], v[20:21]
	;; [unrolled: 1-line block ×3, first 2 shown]
	v_fma_f64 v[124:125], s[6:7], v[82:83], v[102:103]
	v_mul_f64 v[104:105], v[104:105], s[2:3]
	v_fmac_f64_e32 v[120:121], s[22:23], v[76:77]
	v_fmac_f64_e32 v[122:123], s[24:25], v[72:73]
	v_add_f64 v[68:69], v[92:93], v[68:69]
	v_fma_f64 v[76:77], v[80:81], s[20:21], -v[98:99]
	v_add_f64 v[74:75], v[78:79], v[74:75]
	v_add_f64 v[20:21], v[28:29], v[20:21]
	;; [unrolled: 1-line block ×3, first 2 shown]
	v_fma_f64 v[88:89], s[10:11], v[96:97], v[104:105]
	v_mul_f64 v[106:107], v[106:107], s[16:17]
	v_add_f64 v[68:69], v[122:123], v[68:69]
	v_fma_f64 v[70:71], v[82:83], s[6:7], -v[102:103]
	v_add_f64 v[74:75], v[76:77], v[74:75]
	v_add_f64 v[20:21], v[44:45], v[20:21]
	;; [unrolled: 1-line block ×3, first 2 shown]
	v_fma_f64 v[112:113], s[0:1], v[84:85], v[136:137]
	v_add_f64 v[88:89], v[88:89], v[86:87]
	v_fma_f64 v[86:87], s[2:3], v[84:85], v[106:107]
	v_fmac_f64_e32 v[104:105], s[16:17], v[96:97]
	v_add_f64 v[68:69], v[120:121], v[68:69]
	v_fma_f64 v[72:73], v[84:85], s[2:3], -v[106:107]
	v_add_f64 v[74:75], v[70:71], v[74:75]
	v_add_f64 v[20:21], v[50:51], v[20:21]
	v_lshl_add_u64 v[24:25], v[38:39], 4, v[40:41]
	v_add_f64 v[112:113], v[112:113], v[132:133]
	v_add_f64 v[86:87], v[86:87], v[124:125]
	;; [unrolled: 1-line block ×4, first 2 shown]
	global_store_dwordx4 v[24:25], v[20:23], off
	global_store_dwordx4 v[24:25], v[68:71], off offset:112
	global_store_dwordx4 v[24:25], v[116:119], off offset:224
	;; [unrolled: 1-line block ×10, first 2 shown]
	s_endpgm
	.section	.rodata,"a",@progbits
	.p2align	6, 0x0
	.amdhsa_kernel fft_rtc_fwd_len77_factors_7_11_wgs_253_tpt_11_halfLds_dp_ip_CI_unitstride_sbrr_dirReg
		.amdhsa_group_segment_fixed_size 0
		.amdhsa_private_segment_fixed_size 0
		.amdhsa_kernarg_size 88
		.amdhsa_user_sgpr_count 2
		.amdhsa_user_sgpr_dispatch_ptr 0
		.amdhsa_user_sgpr_queue_ptr 0
		.amdhsa_user_sgpr_kernarg_segment_ptr 1
		.amdhsa_user_sgpr_dispatch_id 0
		.amdhsa_user_sgpr_kernarg_preload_length 0
		.amdhsa_user_sgpr_kernarg_preload_offset 0
		.amdhsa_user_sgpr_private_segment_size 0
		.amdhsa_uses_dynamic_stack 0
		.amdhsa_enable_private_segment 0
		.amdhsa_system_sgpr_workgroup_id_x 1
		.amdhsa_system_sgpr_workgroup_id_y 0
		.amdhsa_system_sgpr_workgroup_id_z 0
		.amdhsa_system_sgpr_workgroup_info 0
		.amdhsa_system_vgpr_workitem_id 0
		.amdhsa_next_free_vgpr 138
		.amdhsa_next_free_sgpr 30
		.amdhsa_accum_offset 140
		.amdhsa_reserve_vcc 1
		.amdhsa_float_round_mode_32 0
		.amdhsa_float_round_mode_16_64 0
		.amdhsa_float_denorm_mode_32 3
		.amdhsa_float_denorm_mode_16_64 3
		.amdhsa_dx10_clamp 1
		.amdhsa_ieee_mode 1
		.amdhsa_fp16_overflow 0
		.amdhsa_tg_split 0
		.amdhsa_exception_fp_ieee_invalid_op 0
		.amdhsa_exception_fp_denorm_src 0
		.amdhsa_exception_fp_ieee_div_zero 0
		.amdhsa_exception_fp_ieee_overflow 0
		.amdhsa_exception_fp_ieee_underflow 0
		.amdhsa_exception_fp_ieee_inexact 0
		.amdhsa_exception_int_div_zero 0
	.end_amdhsa_kernel
	.text
.Lfunc_end0:
	.size	fft_rtc_fwd_len77_factors_7_11_wgs_253_tpt_11_halfLds_dp_ip_CI_unitstride_sbrr_dirReg, .Lfunc_end0-fft_rtc_fwd_len77_factors_7_11_wgs_253_tpt_11_halfLds_dp_ip_CI_unitstride_sbrr_dirReg
                                        ; -- End function
	.section	.AMDGPU.csdata,"",@progbits
; Kernel info:
; codeLenInByte = 5388
; NumSgprs: 36
; NumVgprs: 138
; NumAgprs: 0
; TotalNumVgprs: 138
; ScratchSize: 0
; MemoryBound: 1
; FloatMode: 240
; IeeeMode: 1
; LDSByteSize: 0 bytes/workgroup (compile time only)
; SGPRBlocks: 4
; VGPRBlocks: 17
; NumSGPRsForWavesPerEU: 36
; NumVGPRsForWavesPerEU: 138
; AccumOffset: 140
; Occupancy: 3
; WaveLimiterHint : 1
; COMPUTE_PGM_RSRC2:SCRATCH_EN: 0
; COMPUTE_PGM_RSRC2:USER_SGPR: 2
; COMPUTE_PGM_RSRC2:TRAP_HANDLER: 0
; COMPUTE_PGM_RSRC2:TGID_X_EN: 1
; COMPUTE_PGM_RSRC2:TGID_Y_EN: 0
; COMPUTE_PGM_RSRC2:TGID_Z_EN: 0
; COMPUTE_PGM_RSRC2:TIDIG_COMP_CNT: 0
; COMPUTE_PGM_RSRC3_GFX90A:ACCUM_OFFSET: 34
; COMPUTE_PGM_RSRC3_GFX90A:TG_SPLIT: 0
	.text
	.p2alignl 6, 3212836864
	.fill 256, 4, 3212836864
	.type	__hip_cuid_a77dba59d6495d43,@object ; @__hip_cuid_a77dba59d6495d43
	.section	.bss,"aw",@nobits
	.globl	__hip_cuid_a77dba59d6495d43
__hip_cuid_a77dba59d6495d43:
	.byte	0                               ; 0x0
	.size	__hip_cuid_a77dba59d6495d43, 1

	.ident	"AMD clang version 19.0.0git (https://github.com/RadeonOpenCompute/llvm-project roc-6.4.0 25133 c7fe45cf4b819c5991fe208aaa96edf142730f1d)"
	.section	".note.GNU-stack","",@progbits
	.addrsig
	.addrsig_sym __hip_cuid_a77dba59d6495d43
	.amdgpu_metadata
---
amdhsa.kernels:
  - .agpr_count:     0
    .args:
      - .actual_access:  read_only
        .address_space:  global
        .offset:         0
        .size:           8
        .value_kind:     global_buffer
      - .offset:         8
        .size:           8
        .value_kind:     by_value
      - .actual_access:  read_only
        .address_space:  global
        .offset:         16
        .size:           8
        .value_kind:     global_buffer
      - .actual_access:  read_only
        .address_space:  global
        .offset:         24
        .size:           8
        .value_kind:     global_buffer
      - .offset:         32
        .size:           8
        .value_kind:     by_value
      - .actual_access:  read_only
        .address_space:  global
        .offset:         40
        .size:           8
        .value_kind:     global_buffer
      - .actual_access:  read_only
        .address_space:  global
        .offset:         48
        .size:           8
        .value_kind:     global_buffer
      - .offset:         56
        .size:           4
        .value_kind:     by_value
      - .actual_access:  read_only
        .address_space:  global
        .offset:         64
        .size:           8
        .value_kind:     global_buffer
      - .actual_access:  read_only
        .address_space:  global
        .offset:         72
        .size:           8
        .value_kind:     global_buffer
      - .address_space:  global
        .offset:         80
        .size:           8
        .value_kind:     global_buffer
    .group_segment_fixed_size: 0
    .kernarg_segment_align: 8
    .kernarg_segment_size: 88
    .language:       OpenCL C
    .language_version:
      - 2
      - 0
    .max_flat_workgroup_size: 253
    .name:           fft_rtc_fwd_len77_factors_7_11_wgs_253_tpt_11_halfLds_dp_ip_CI_unitstride_sbrr_dirReg
    .private_segment_fixed_size: 0
    .sgpr_count:     36
    .sgpr_spill_count: 0
    .symbol:         fft_rtc_fwd_len77_factors_7_11_wgs_253_tpt_11_halfLds_dp_ip_CI_unitstride_sbrr_dirReg.kd
    .uniform_work_group_size: 1
    .uses_dynamic_stack: false
    .vgpr_count:     138
    .vgpr_spill_count: 0
    .wavefront_size: 64
amdhsa.target:   amdgcn-amd-amdhsa--gfx950
amdhsa.version:
  - 1
  - 2
...

	.end_amdgpu_metadata
